;; amdgpu-corpus repo=ROCm/rocFFT kind=compiled arch=gfx906 opt=O3
	.text
	.amdgcn_target "amdgcn-amd-amdhsa--gfx906"
	.amdhsa_code_object_version 6
	.protected	fft_rtc_fwd_len192_factors_6_4_4_2_wgs_256_tpt_32_half_op_CI_CI_sbrc_xy_z_diag ; -- Begin function fft_rtc_fwd_len192_factors_6_4_4_2_wgs_256_tpt_32_half_op_CI_CI_sbrc_xy_z_diag
	.globl	fft_rtc_fwd_len192_factors_6_4_4_2_wgs_256_tpt_32_half_op_CI_CI_sbrc_xy_z_diag
	.p2align	8
	.type	fft_rtc_fwd_len192_factors_6_4_4_2_wgs_256_tpt_32_half_op_CI_CI_sbrc_xy_z_diag,@function
fft_rtc_fwd_len192_factors_6_4_4_2_wgs_256_tpt_32_half_op_CI_CI_sbrc_xy_z_diag: ; @fft_rtc_fwd_len192_factors_6_4_4_2_wgs_256_tpt_32_half_op_CI_CI_sbrc_xy_z_diag
; %bb.0:
	s_load_dwordx8 s[8:15], s[4:5], 0x0
	v_mul_u32_u24_e32 v2, 0x156, v0
	v_lshrrev_b32_e32 v4, 16, v2
	v_or_b32_e32 v5, 0x100, v0
	v_mul_u32_u24_e32 v6, 0x156, v5
	s_waitcnt lgkmcnt(0)
	s_load_dwordx4 s[0:3], s[12:13], 0x8
	s_nop 0
	s_load_dwordx2 s[12:13], s[4:5], 0x58
	s_load_dwordx2 s[16:17], s[4:5], 0x20
	s_mov_b32 s7, 0
	v_lshrrev_b32_e32 v8, 16, v6
	v_mul_lo_u16_e32 v6, 0xc0, v8
	s_waitcnt lgkmcnt(0)
	s_add_i32 s1, s2, -1
	s_lshr_b32 s1, s1, 3
	s_add_i32 s1, s1, 1
	s_mul_i32 s19, s1, s0
	v_cvt_f32_u32_e32 v1, s19
	s_sub_i32 s18, 0, s19
	s_load_dwordx4 s[0:3], s[14:15], 0x0
	s_waitcnt lgkmcnt(0)
	s_load_dword s3, s[14:15], 0x10
	v_rcp_iflag_f32_e32 v1, v1
	v_sub_u16_e32 v9, v5, v6
                                        ; implicit-def: $vgpr21
	v_mul_f32_e32 v1, 0x4f7ffffe, v1
	v_cvt_u32_f32_e32 v1, v1
	v_readfirstlane_b32 s20, v1
	s_mul_i32 s18, s18, s20
	s_mul_hi_u32 s18, s20, s18
	s_add_i32 s20, s20, s18
	s_mul_hi_u32 s18, s6, s20
	s_mul_i32 s20, s18, s19
	s_sub_i32 s20, s6, s20
	s_add_i32 s21, s18, 1
	s_sub_i32 s22, s20, s19
	s_cmp_ge_u32 s20, s19
	s_cselect_b32 s18, s21, s18
	s_cselect_b32 s20, s22, s20
	s_add_i32 s21, s18, 1
	s_cmp_ge_u32 s20, s19
	s_cselect_b32 s18, s21, s18
	s_mul_i32 s19, s18, s19
	s_sub_i32 s6, s6, s19
	s_and_b32 s19, s6, 31
	s_lshr_b32 s6, s6, 5
	s_add_i32 s6, s6, s19
	s_mul_hi_u32 s20, s6, 0xaaaaaab
	s_lshr_b32 s20, s20, 3
	s_mulk_i32 s20, 0xc0
	s_lshl_b32 s19, s19, 3
	s_sub_i32 s20, s6, s20
	s_waitcnt lgkmcnt(0)
	s_mul_i32 s21, s19, s3
	s_mul_i32 s2, s20, s2
	s_lshl_b64 s[10:11], s[10:11], 3
	s_add_i32 s6, s2, s21
	s_add_u32 s14, s14, s10
	s_addc_u32 s15, s15, s11
	s_load_dwordx2 s[14:15], s[14:15], 0x0
	v_mul_lo_u16_e32 v1, 0xc0, v4
	v_sub_u16_e32 v3, v0, v1
	v_mad_u64_u32 v[1:2], s[22:23], s0, v3, 0
	s_waitcnt lgkmcnt(0)
	s_mul_i32 s2, s15, s18
	s_mul_hi_u32 s15, s14, s18
	s_add_i32 s15, s15, s2
	s_mul_i32 s14, s14, s18
	s_add_u32 s10, s16, s10
	s_addc_u32 s11, s17, s11
	s_lshl_b64 s[14:15], s[14:15], 2
	v_mad_u64_u32 v[2:3], s[22:23], s1, v3, v[2:3]
	s_add_u32 s2, s12, s14
	s_addc_u32 s12, s13, s15
	s_lshl_b64 s[6:7], s[6:7], 2
	s_add_u32 s2, s2, s6
	v_mul_lo_u32 v3, s3, v4
	s_addc_u32 s12, s12, s7
	v_mad_u64_u32 v[5:6], s[6:7], s0, v9, 0
	v_lshlrev_b64 v[1:2], 2, v[1:2]
	v_mov_b32_e32 v4, 0
	v_mov_b32_e32 v7, s12
	v_add_co_u32_e32 v10, vcc, s2, v1
	v_addc_co_u32_e32 v11, vcc, v7, v2, vcc
	v_lshlrev_b64 v[1:2], 2, v[3:4]
	v_mov_b32_e32 v3, v6
	v_mad_u64_u32 v[6:7], s[6:7], s1, v9, v[3:4]
	v_or_b32_e32 v7, 0x200, v0
	v_mul_lo_u32 v3, s3, v8
	v_mul_u32_u24_e32 v8, 0x2ab, v7
	v_add_co_u32_e32 v1, vcc, v10, v1
	v_lshrrev_b32_e32 v10, 17, v8
	v_mul_lo_u16_e32 v8, 0xc0, v10
	v_addc_co_u32_e32 v2, vcc, v11, v2, vcc
	v_sub_u16_e32 v11, v7, v8
	v_mad_u64_u32 v[7:8], s[6:7], s0, v11, 0
	v_lshlrev_b64 v[5:6], 2, v[5:6]
	v_mov_b32_e32 v9, s12
	v_add_co_u32_e32 v12, vcc, s2, v5
	v_addc_co_u32_e32 v13, vcc, v9, v6, vcc
	v_lshlrev_b64 v[5:6], 2, v[3:4]
	v_mov_b32_e32 v3, v8
	v_mad_u64_u32 v[8:9], s[6:7], s1, v11, v[3:4]
	v_or_b32_e32 v9, 0x300, v0
	v_mul_lo_u32 v3, s3, v10
	v_mul_u32_u24_e32 v10, 0x2ab, v9
	v_add_co_u32_e32 v5, vcc, v12, v5
	v_lshrrev_b32_e32 v12, 17, v10
	v_mul_lo_u16_e32 v10, 0xc0, v12
	v_addc_co_u32_e32 v6, vcc, v13, v6, vcc
	v_sub_u16_e32 v13, v9, v10
	v_mad_u64_u32 v[9:10], s[6:7], s0, v13, 0
	v_lshlrev_b64 v[7:8], 2, v[7:8]
	;; [unrolled: 16-line block ×4, first 2 shown]
	v_mov_b32_e32 v15, s12
	v_add_co_u32_e32 v18, vcc, s2, v11
	v_addc_co_u32_e32 v19, vcc, v15, v12, vcc
	v_lshlrev_b64 v[11:12], 2, v[3:4]
	v_mov_b32_e32 v3, v14
	v_mad_u64_u32 v[14:15], s[0:1], s1, v17, v[3:4]
	v_mul_lo_u32 v3, s3, v16
	v_add_co_u32_e32 v11, vcc, v18, v11
	v_lshlrev_b64 v[13:14], 2, v[13:14]
	v_addc_co_u32_e32 v12, vcc, v19, v12, vcc
	v_mov_b32_e32 v15, s12
	v_add_co_u32_e32 v13, vcc, s2, v13
	v_lshlrev_b64 v[3:4], 2, v[3:4]
	v_addc_co_u32_e32 v14, vcc, v15, v14, vcc
	v_add_co_u32_e32 v3, vcc, v13, v3
	v_addc_co_u32_e32 v4, vcc, v14, v4, vcc
	global_load_dword v13, v[1:2], off
	global_load_dword v14, v[5:6], off
	;; [unrolled: 1-line block ×6, first 2 shown]
	v_lshrrev_b32_e32 v1, 5, v0
	v_mul_u32_u24_e32 v10, 0xc0, v1
	v_lshl_add_u32 v1, v0, 2, 0
	s_load_dwordx4 s[12:15], s[16:17], 0x0
	s_load_dwordx2 s[6:7], s[16:17], 0x10
	s_load_dwordx2 s[2:3], s[10:11], 0x0
	s_movk_i32 s0, 0x3aee
	s_mov_b32 s1, 0xffff
	s_waitcnt vmcnt(4)
	ds_write2st64_b32 v1, v13, v14 offset1:4
	s_waitcnt vmcnt(2)
	ds_write2st64_b32 v1, v15, v16 offset0:8 offset1:12
	s_waitcnt vmcnt(0)
	ds_write2st64_b32 v1, v17, v18 offset0:16 offset1:20
	v_and_b32_e32 v15, 31, v0
	v_lshlrev_b32_e32 v13, 2, v15
	v_lshlrev_b32_e32 v14, 2, v10
	v_add_u32_e32 v12, 0, v13
	v_add_u32_e32 v9, v12, v14
	s_waitcnt lgkmcnt(0)
	s_barrier
	v_add3_u32 v11, 0, v14, v13
	ds_read2_b32 v[1:2], v9 offset0:32 offset1:64
	ds_read_b32 v5, v11
	ds_read2_b32 v[3:4], v9 offset0:96 offset1:128
	ds_read_b32 v6, v9 offset:640
	v_mad_u32_u24 v16, v15, 20, v9
	s_waitcnt lgkmcnt(0)
	v_pk_add_f16 v7, v5, v2
	v_pk_add_f16 v8, v1, v3
	;; [unrolled: 1-line block ×4, first 2 shown]
	v_pk_add_f16 v2, v2, v4 neg_lo:[0,1] neg_hi:[0,1]
	v_pk_fma_f16 v5, v8, 0.5, v5 op_sel_hi:[1,0,1] neg_lo:[1,0,0] neg_hi:[1,0,0]
	v_pk_mul_f16 v2, v2, s0 op_sel_hi:[1,0]
	v_pk_add_f16 v7, v7, v4
	v_pk_add_f16 v4, v5, v2 op_sel:[0,1] op_sel_hi:[1,0]
	v_pk_add_f16 v2, v5, v2 op_sel:[0,1] op_sel_hi:[1,0] neg_lo:[0,1] neg_hi:[0,1]
	v_pk_add_f16 v5, v3, v6
	v_pk_fma_f16 v1, v5, 0.5, v1 op_sel_hi:[1,0,1] neg_lo:[1,0,0] neg_hi:[1,0,0]
	v_pk_add_f16 v3, v3, v6 neg_lo:[0,1] neg_hi:[0,1]
	v_pk_fma_f16 v6, v3, s0, v1 op_sel:[0,0,1] op_sel_hi:[1,0,0]
	v_pk_fma_f16 v1, v3, s0, v1 op_sel:[0,0,1] op_sel_hi:[1,0,0] neg_lo:[1,0,0] neg_hi:[1,0,0]
	v_lshrrev_b32_e32 v8, 16, v6
	v_bfi_b32 v3, s1, v6, v1
	v_mul_f16_e32 v6, 0x3aee, v1
	v_fma_f16 v6, v8, 0.5, v6
	v_mul_f16_e32 v8, 0xbaee, v8
	v_fma_f16 v20, v1, 0.5, v8
	s_mov_b32 s0, 0xbaee3aee
	v_pk_mul_f16 v1, v3, 0.5 op_sel_hi:[1,0]
	v_bfi_b32 v5, s1, v2, v4
	v_pk_fma_f16 v3, v3, s0, v1 op_sel:[0,0,1] op_sel_hi:[1,1,0] neg_lo:[0,0,1] neg_hi:[0,0,1]
	v_add_f16_e32 v19, v4, v6
	v_add_f16_sdwa v1, v2, v20 dst_sel:DWORD dst_unused:UNUSED_PAD src0_sel:WORD_1 src1_sel:DWORD
	v_pk_add_f16 v5, v5, v3
	v_sub_f16_sdwa v8, v4, v3 dst_sel:DWORD dst_unused:UNUSED_PAD src0_sel:WORD_1 src1_sel:WORD_1
	v_pack_b32_f16 v3, v20, v3
	v_pk_add_f16 v18, v7, v17
	v_pack_b32_f16 v19, v19, v1
	v_sub_f16_e32 v1, v4, v6
	v_pk_add_f16 v4, v7, v17 neg_lo:[0,1] neg_hi:[0,1]
	v_pk_add_f16 v7, v2, v3 op_sel:[1,0] op_sel_hi:[0,1] neg_lo:[0,1] neg_hi:[0,1]
	v_alignbit_b32 v2, v8, v7, 16
	v_pack_b32_f16 v3, v1, v7
	s_barrier
	ds_write2_b32 v16, v18, v19 offset1:1
	ds_write2_b32 v16, v5, v4 offset0:2 offset1:3
	ds_write2_b32 v16, v3, v2 offset0:4 offset1:5
	s_waitcnt lgkmcnt(0)
	s_barrier
	ds_read2_b32 v[3:4], v9 offset0:48 offset1:96
	ds_read_b32 v18, v11
	ds_read_b32 v19, v9 offset:576
	v_lshrrev_b32_e32 v2, 16, v7
	v_cmp_gt_u32_e32 vcc, 16, v15
                                        ; implicit-def: $vgpr20
                                        ; implicit-def: $vgpr6
	s_and_saveexec_b64 s[0:1], vcc
	s_cbranch_execz .LBB0_2
; %bb.1:
	ds_read2_b32 v[1:2], v9 offset0:32 offset1:80
	ds_read2_b32 v[5:6], v9 offset0:128 offset1:176
	s_waitcnt lgkmcnt(1)
	v_lshrrev_b32_e32 v7, 16, v1
	v_lshrrev_b32_e32 v8, 16, v2
	s_waitcnt lgkmcnt(0)
	v_lshrrev_b32_e32 v21, 16, v5
	v_lshrrev_b32_e32 v20, 16, v6
.LBB0_2:
	s_or_b64 exec, exec, s[0:1]
	v_mul_lo_u16_e32 v31, 43, v15
	v_mov_b32_e32 v23, 6
	v_mul_lo_u16_sdwa v16, v31, v23 dst_sel:DWORD dst_unused:UNUSED_PAD src0_sel:BYTE_1 src1_sel:DWORD
	v_sub_u16_e32 v32, v15, v16
	v_mul_lo_u16_e32 v16, 3, v32
	v_mov_b32_e32 v22, 2
	v_lshlrev_b32_sdwa v16, v22, v16 dst_sel:DWORD dst_unused:UNUSED_PAD src0_sel:DWORD src1_sel:BYTE_0
	global_load_dwordx3 v[25:27], v16, s[8:9]
	v_or_b32_e32 v16, 32, v15
	v_mul_lo_u16_e32 v17, 43, v16
	v_mul_lo_u16_sdwa v23, v17, v23 dst_sel:DWORD dst_unused:UNUSED_PAD src0_sel:BYTE_1 src1_sel:DWORD
	v_sub_u16_e32 v23, v16, v23
	v_mul_lo_u16_e32 v24, 3, v23
	v_lshlrev_b32_sdwa v24, v22, v24 dst_sel:DWORD dst_unused:UNUSED_PAD src0_sel:DWORD src1_sel:BYTE_0
	global_load_dwordx3 v[28:30], v24, s[8:9]
	v_mov_b32_e32 v24, 24
	s_waitcnt lgkmcnt(2)
	v_lshrrev_b32_e32 v33, 16, v3
	v_lshrrev_b32_e32 v34, 16, v4
	s_waitcnt lgkmcnt(0)
	v_lshrrev_b32_e32 v35, 16, v19
	v_mul_lo_u16_sdwa v31, v31, v24 dst_sel:DWORD dst_unused:UNUSED_PAD src0_sel:BYTE_1 src1_sel:DWORD
	v_or_b32_e32 v31, v31, v32
	v_lshrrev_b32_e32 v36, 16, v18
	v_lshlrev_b32_sdwa v31, v22, v31 dst_sel:DWORD dst_unused:UNUSED_PAD src0_sel:DWORD src1_sel:BYTE_0
	v_add3_u32 v31, 0, v31, v14
	s_waitcnt vmcnt(0)
	s_barrier
	v_mul_f16_sdwa v32, v25, v33 dst_sel:DWORD dst_unused:UNUSED_PAD src0_sel:WORD_1 src1_sel:DWORD
	v_mul_f16_sdwa v37, v26, v34 dst_sel:DWORD dst_unused:UNUSED_PAD src0_sel:WORD_1 src1_sel:DWORD
	;; [unrolled: 1-line block ×6, first 2 shown]
	v_fma_f16 v3, v25, v3, -v32
	v_fma_f16 v4, v26, v4, -v37
	v_fma_f16 v25, v25, v33, v38
	v_fma_f16 v26, v26, v34, v39
	v_fma_f16 v19, v27, v19, -v40
	v_fma_f16 v27, v27, v35, v41
	v_mul_f16_sdwa v32, v21, v29 dst_sel:DWORD dst_unused:UNUSED_PAD src0_sel:DWORD src1_sel:WORD_1
	v_mul_f16_sdwa v33, v20, v30 dst_sel:DWORD dst_unused:UNUSED_PAD src0_sel:DWORD src1_sel:WORD_1
	;; [unrolled: 1-line block ×6, first 2 shown]
	v_fma_f16 v5, v5, v29, -v32
	v_fma_f16 v6, v6, v30, -v33
	v_fma_f16 v21, v21, v29, v34
	v_fma_f16 v20, v20, v30, v35
	;; [unrolled: 1-line block ×3, first 2 shown]
	v_fma_f16 v2, v2, v28, -v38
	v_sub_f16_e32 v4, v18, v4
	v_sub_f16_e32 v26, v36, v26
	;; [unrolled: 1-line block ×5, first 2 shown]
	v_fma_f16 v18, v18, 2.0, -v4
	v_fma_f16 v29, v36, 2.0, -v26
	;; [unrolled: 1-line block ×4, first 2 shown]
	v_sub_f16_e32 v25, v4, v27
	v_add_f16_e32 v19, v26, v19
	v_sub_f16_e32 v27, v2, v6
	v_sub_f16_e32 v6, v8, v20
	;; [unrolled: 1-line block ×3, first 2 shown]
	v_fma_f16 v1, v1, 2.0, -v28
	v_fma_f16 v4, v4, 2.0, -v25
	;; [unrolled: 1-line block ×5, first 2 shown]
	v_sub_f16_e32 v3, v18, v3
	v_sub_f16_e32 v26, v29, v5
	v_fma_f16 v7, v7, 2.0, -v21
	v_pack_b32_f16 v25, v25, v19
	v_sub_f16_e32 v6, v28, v6
	v_add_f16_e32 v19, v21, v27
	v_sub_f16_e32 v5, v1, v2
	v_pack_b32_f16 v2, v4, v20
	v_fma_f16 v18, v18, 2.0, -v3
	v_fma_f16 v27, v29, 2.0, -v26
	v_sub_f16_e32 v20, v7, v8
	v_pack_b32_f16 v26, v3, v26
	v_fma_f16 v4, v28, 2.0, -v6
	v_fma_f16 v21, v21, 2.0, -v19
	;; [unrolled: 1-line block ×3, first 2 shown]
	v_pack_b32_f16 v1, v18, v27
	v_fma_f16 v18, v7, 2.0, -v20
	ds_write2_b32 v31, v1, v2 offset1:6
	ds_write2_b32 v31, v26, v25 offset0:12 offset1:18
	s_and_saveexec_b64 s[0:1], vcc
	s_cbranch_execz .LBB0_4
; %bb.3:
	v_mul_lo_u16_sdwa v1, v17, v24 dst_sel:DWORD dst_unused:UNUSED_PAD src0_sel:BYTE_1 src1_sel:DWORD
	v_or_b32_e32 v1, v1, v23
	v_lshlrev_b32_sdwa v1, v22, v1 dst_sel:DWORD dst_unused:UNUSED_PAD src0_sel:DWORD src1_sel:BYTE_0
	s_mov_b32 s7, 0x5040100
	v_add3_u32 v1, 0, v1, v14
	v_perm_b32 v2, v18, v3, s7
	v_perm_b32 v7, v21, v4, s7
	ds_write2_b32 v1, v2, v7 offset1:6
	v_perm_b32 v2, v20, v5, s7
	v_perm_b32 v7, v19, v6, s7
	ds_write2_b32 v1, v2, v7 offset0:12 offset1:18
.LBB0_4:
	s_or_b64 exec, exec, s[0:1]
	s_waitcnt lgkmcnt(0)
	s_barrier
	ds_read2_b32 v[7:8], v9 offset0:48 offset1:96
	ds_read_b32 v22, v11
	ds_read_b32 v23, v9 offset:576
	s_load_dwordx2 s[4:5], s[4:5], 0x60
	s_and_saveexec_b64 s[0:1], vcc
	s_cbranch_execz .LBB0_6
; %bb.5:
	ds_read2_b32 v[3:4], v9 offset0:32 offset1:80
	ds_read2_b32 v[5:6], v9 offset0:128 offset1:176
	s_waitcnt lgkmcnt(0)
	v_lshrrev_b32_e32 v18, 16, v3
	v_lshrrev_b32_e32 v21, 16, v4
	;; [unrolled: 1-line block ×4, first 2 shown]
.LBB0_6:
	s_or_b64 exec, exec, s[0:1]
	v_subrev_u32_e32 v1, 24, v15
	v_cmp_gt_u32_e64 s[0:1], 24, v15
	v_cndmask_b32_e64 v27, v1, v15, s[0:1]
	v_mul_i32_i24_e32 v1, 3, v27
	v_mov_b32_e32 v2, 0
	v_lshlrev_b64 v[24:25], 2, v[1:2]
	v_mov_b32_e32 v1, s9
	v_add_co_u32_e64 v24, s[0:1], s8, v24
	v_addc_co_u32_e64 v25, s[0:1], v1, v25, s[0:1]
	global_load_dwordx3 v[24:26], v[24:25], off offset:72
	v_mov_b32_e32 v31, 0x60
	v_cmp_lt_u32_e64 s[0:1], 23, v15
	s_waitcnt lgkmcnt(0)
	v_lshrrev_b32_e32 v28, 16, v7
	v_lshrrev_b32_e32 v29, 16, v8
	;; [unrolled: 1-line block ×3, first 2 shown]
	v_cndmask_b32_e64 v15, 0, v31, s[0:1]
	v_or_b32_e32 v15, v15, v27
	v_lshrrev_b32_e32 v1, 16, v22
	v_lshlrev_b32_e32 v15, 2, v15
	s_mov_b32 s7, 0
	v_add3_u32 v15, 0, v15, v14
	s_waitcnt vmcnt(0)
	s_barrier
	v_mul_f16_sdwa v27, v24, v28 dst_sel:DWORD dst_unused:UNUSED_PAD src0_sel:WORD_1 src1_sel:DWORD
	v_mul_f16_sdwa v31, v24, v7 dst_sel:DWORD dst_unused:UNUSED_PAD src0_sel:WORD_1 src1_sel:DWORD
	;; [unrolled: 1-line block ×6, first 2 shown]
	v_fma_f16 v7, v24, v7, -v27
	v_fma_f16 v24, v24, v28, v31
	v_fma_f16 v8, v25, v8, -v32
	v_fma_f16 v25, v25, v29, v33
	;; [unrolled: 2-line block ×3, first 2 shown]
	v_sub_f16_e32 v8, v22, v8
	v_sub_f16_e32 v25, v1, v25
	;; [unrolled: 1-line block ×4, first 2 shown]
	v_fma_f16 v22, v22, 2.0, -v8
	v_fma_f16 v1, v1, 2.0, -v25
	v_fma_f16 v7, v7, 2.0, -v23
	v_fma_f16 v24, v24, 2.0, -v26
	v_sub_f16_e32 v26, v8, v26
	v_add_f16_e32 v23, v25, v23
	v_sub_f16_e32 v7, v22, v7
	v_sub_f16_e32 v24, v1, v24
	v_fma_f16 v8, v8, 2.0, -v26
	v_fma_f16 v25, v25, 2.0, -v23
	;; [unrolled: 1-line block ×4, first 2 shown]
	v_pack_b32_f16 v8, v8, v25
	v_pack_b32_f16 v1, v22, v1
	;; [unrolled: 1-line block ×4, first 2 shown]
	ds_write2_b32 v15, v1, v8 offset1:24
	ds_write2_b32 v15, v7, v23 offset0:48 offset1:72
	s_and_saveexec_b64 s[0:1], vcc
	s_cbranch_execz .LBB0_8
; %bb.7:
	v_lshrrev_b16_e32 v1, 10, v17
	v_mul_lo_u16_e32 v1, 24, v1
	v_sub_u16_e32 v1, v16, v1
	v_mov_b32_e32 v7, 3
	v_mul_u32_u24_sdwa v7, v1, v7 dst_sel:DWORD dst_unused:UNUSED_PAD src0_sel:BYTE_0 src1_sel:DWORD
	v_lshlrev_b32_e32 v7, 2, v7
	global_load_dwordx3 v[15:17], v7, s[8:9] offset:72
	v_mov_b32_e32 v7, 2
	v_lshlrev_b32_sdwa v1, v7, v1 dst_sel:DWORD dst_unused:UNUSED_PAD src0_sel:DWORD src1_sel:BYTE_0
	v_add3_u32 v1, 0, v1, v14
	s_waitcnt vmcnt(0)
	v_mul_f16_sdwa v7, v20, v16 dst_sel:DWORD dst_unused:UNUSED_PAD src0_sel:DWORD src1_sel:WORD_1
	v_mul_f16_sdwa v8, v4, v15 dst_sel:DWORD dst_unused:UNUSED_PAD src0_sel:DWORD src1_sel:WORD_1
	;; [unrolled: 1-line block ×6, first 2 shown]
	v_fma_f16 v5, v5, v16, -v7
	v_fma_f16 v7, v21, v15, v8
	v_fma_f16 v8, v19, v17, v14
	;; [unrolled: 1-line block ×3, first 2 shown]
	v_fma_f16 v4, v4, v15, -v23
	v_fma_f16 v6, v6, v17, -v24
	v_sub_f16_e32 v5, v3, v5
	v_sub_f16_e32 v8, v7, v8
	;; [unrolled: 1-line block ×4, first 2 shown]
	v_add_f16_e32 v16, v14, v6
	v_fma_f16 v3, v3, 2.0, -v5
	v_fma_f16 v4, v4, 2.0, -v6
	;; [unrolled: 1-line block ×4, first 2 shown]
	v_sub_f16_e32 v15, v5, v8
	v_sub_f16_e32 v4, v3, v4
	v_sub_f16_e32 v7, v6, v7
	v_fma_f16 v5, v5, 2.0, -v15
	v_fma_f16 v8, v14, 2.0, -v16
	;; [unrolled: 1-line block ×4, first 2 shown]
	v_pack_b32_f16 v5, v5, v8
	v_pack_b32_f16 v3, v3, v6
	;; [unrolled: 1-line block ×4, first 2 shown]
	ds_write2_b32 v1, v3, v5 offset0:96 offset1:120
	ds_write2_b32 v1, v4, v14 offset0:144 offset1:168
.LBB0_8:
	s_or_b64 exec, exec, s[0:1]
	s_waitcnt lgkmcnt(0)
	s_barrier
	global_load_dword v14, v13, s[8:9] offset:360
	global_load_dword v15, v13, s[8:9] offset:488
	;; [unrolled: 1-line block ×3, first 2 shown]
	s_mul_i32 s1, s13, s19
	s_mul_hi_u32 s8, s12, s19
	s_mul_i32 s3, s3, s18
	s_mul_hi_u32 s9, s2, s18
	v_lshl_add_u32 v17, v10, 2, v12
	v_and_b32_e32 v12, 7, v0
	v_lshrrev_b32_e32 v10, 3, v0
	s_add_i32 s1, s8, s1
	s_add_i32 s3, s9, s3
	v_mad_u64_u32 v[7:8], s[8:9], s12, v12, 0
	s_mul_i32 s2, s2, s18
	v_mul_lo_u32 v1, v10, s14
	s_lshl_b64 s[2:3], s[2:3], 2
	s_mul_i32 s0, s12, s19
	v_mul_u32_u24_e32 v0, 0x300, v12
	v_lshlrev_b32_e32 v10, 2, v10
	s_add_u32 s2, s4, s2
	v_add3_u32 v20, 0, v0, v10
	s_addc_u32 s4, s5, s3
	s_lshl_b64 s[0:1], s[0:1], 2
	v_mov_b32_e32 v0, v8
	s_add_u32 s5, s2, s0
	v_mad_u64_u32 v[12:13], s[2:3], s13, v12, v[0:1]
	s_mul_i32 s6, s20, s6
	s_addc_u32 s2, s4, s1
	s_lshl_b64 s[0:1], s[6:7], 2
	v_mov_b32_e32 v8, v12
	ds_read2_b32 v[3:4], v9 offset0:96 offset1:128
	ds_read2_b32 v[5:6], v9 offset0:32 offset1:64
	ds_read_b32 v18, v11
	ds_read_b32 v19, v9 offset:640
	s_add_u32 s0, s5, s0
	v_lshlrev_b64 v[7:8], 2, v[7:8]
	s_addc_u32 s1, s2, s1
	v_lshlrev_b64 v[10:11], 2, v[1:2]
	v_mov_b32_e32 v0, s1
	v_add_co_u32_e32 v21, vcc, s0, v7
	v_addc_co_u32_e32 v22, vcc, v0, v8, vcc
	v_add_co_u32_e32 v7, vcc, v21, v10
	v_addc_co_u32_e32 v8, vcc, v22, v11, vcc
	s_mov_b32 s10, 0xffff
	s_waitcnt vmcnt(0) lgkmcnt(0)
	s_barrier
	s_lshl_b32 s2, s14, 5
	v_add_u32_e32 v1, s2, v1
	v_lshlrev_b64 v[12:13], 2, v[1:2]
	v_add_u32_e32 v1, s2, v1
	v_pk_mul_f16 v0, v14, v3 op_sel:[0,1]
	v_pk_mul_f16 v10, v15, v4 op_sel:[0,1]
	;; [unrolled: 1-line block ×3, first 2 shown]
	v_pk_fma_f16 v23, v14, v3, v0 op_sel:[0,0,1] op_sel_hi:[1,1,0] neg_lo:[0,0,1] neg_hi:[0,0,1]
	v_pk_fma_f16 v0, v14, v3, v0 op_sel:[0,0,1] op_sel_hi:[1,0,0]
	v_pk_fma_f16 v3, v15, v4, v10 op_sel:[0,0,1] op_sel_hi:[1,1,0] neg_lo:[0,0,1] neg_hi:[0,0,1]
	v_pk_fma_f16 v4, v15, v4, v10 op_sel:[0,0,1] op_sel_hi:[1,0,0]
	;; [unrolled: 2-line block ×3, first 2 shown]
	v_bfi_b32 v0, s10, v23, v0
	v_bfi_b32 v3, s10, v3, v4
	;; [unrolled: 1-line block ×3, first 2 shown]
	v_pk_add_f16 v0, v18, v0 neg_lo:[0,1] neg_hi:[0,1]
	v_pk_add_f16 v3, v5, v3 neg_lo:[0,1] neg_hi:[0,1]
	;; [unrolled: 1-line block ×3, first 2 shown]
	v_pk_fma_f16 v10, v18, 2.0, v0 op_sel_hi:[1,0,1] neg_lo:[0,0,1] neg_hi:[0,0,1]
	v_pk_fma_f16 v5, v5, 2.0, v3 op_sel_hi:[1,0,1] neg_lo:[0,0,1] neg_hi:[0,0,1]
	v_pk_fma_f16 v6, v6, 2.0, v4 op_sel_hi:[1,0,1] neg_lo:[0,0,1] neg_hi:[0,0,1]
	ds_write2_b32 v17, v3, v4 offset0:128 offset1:160
	ds_write2_b32 v9, v10, v5 offset1:32
	ds_write2_b32 v9, v6, v0 offset0:64 offset1:96
	s_waitcnt lgkmcnt(0)
	s_barrier
	ds_read2_b32 v[3:4], v20 offset1:32
	v_add_co_u32_e32 v5, vcc, v21, v12
	v_addc_co_u32_e32 v6, vcc, v22, v13, vcc
	s_waitcnt lgkmcnt(0)
	global_store_dword v[7:8], v3, off
	global_store_dword v[5:6], v4, off
	ds_read2_b32 v[3:4], v20 offset0:64 offset1:96
	v_lshlrev_b64 v[5:6], 2, v[1:2]
	v_add_u32_e32 v1, s2, v1
	v_add_co_u32_e32 v5, vcc, v21, v5
	v_addc_co_u32_e32 v6, vcc, v22, v6, vcc
	s_waitcnt lgkmcnt(0)
	global_store_dword v[5:6], v3, off
	v_lshlrev_b64 v[5:6], 2, v[1:2]
	v_add_u32_e32 v1, s2, v1
	v_add_co_u32_e32 v5, vcc, v21, v5
	v_addc_co_u32_e32 v6, vcc, v22, v6, vcc
	global_store_dword v[5:6], v4, off
	v_lshlrev_b64 v[5:6], 2, v[1:2]
	ds_read2_b32 v[3:4], v20 offset0:128 offset1:160
	v_add_u32_e32 v1, s2, v1
	v_add_co_u32_e32 v5, vcc, v21, v5
	v_lshlrev_b64 v[0:1], 2, v[1:2]
	v_addc_co_u32_e32 v6, vcc, v22, v6, vcc
	v_add_co_u32_e32 v0, vcc, v21, v0
	v_addc_co_u32_e32 v1, vcc, v22, v1, vcc
	s_waitcnt lgkmcnt(0)
	global_store_dword v[5:6], v3, off
	global_store_dword v[0:1], v4, off
	s_endpgm
	.section	.rodata,"a",@progbits
	.p2align	6, 0x0
	.amdhsa_kernel fft_rtc_fwd_len192_factors_6_4_4_2_wgs_256_tpt_32_half_op_CI_CI_sbrc_xy_z_diag
		.amdhsa_group_segment_fixed_size 0
		.amdhsa_private_segment_fixed_size 0
		.amdhsa_kernarg_size 104
		.amdhsa_user_sgpr_count 6
		.amdhsa_user_sgpr_private_segment_buffer 1
		.amdhsa_user_sgpr_dispatch_ptr 0
		.amdhsa_user_sgpr_queue_ptr 0
		.amdhsa_user_sgpr_kernarg_segment_ptr 1
		.amdhsa_user_sgpr_dispatch_id 0
		.amdhsa_user_sgpr_flat_scratch_init 0
		.amdhsa_user_sgpr_private_segment_size 0
		.amdhsa_uses_dynamic_stack 0
		.amdhsa_system_sgpr_private_segment_wavefront_offset 0
		.amdhsa_system_sgpr_workgroup_id_x 1
		.amdhsa_system_sgpr_workgroup_id_y 0
		.amdhsa_system_sgpr_workgroup_id_z 0
		.amdhsa_system_sgpr_workgroup_info 0
		.amdhsa_system_vgpr_workitem_id 0
		.amdhsa_next_free_vgpr 42
		.amdhsa_next_free_sgpr 24
		.amdhsa_reserve_vcc 1
		.amdhsa_reserve_flat_scratch 0
		.amdhsa_float_round_mode_32 0
		.amdhsa_float_round_mode_16_64 0
		.amdhsa_float_denorm_mode_32 3
		.amdhsa_float_denorm_mode_16_64 3
		.amdhsa_dx10_clamp 1
		.amdhsa_ieee_mode 1
		.amdhsa_fp16_overflow 0
		.amdhsa_exception_fp_ieee_invalid_op 0
		.amdhsa_exception_fp_denorm_src 0
		.amdhsa_exception_fp_ieee_div_zero 0
		.amdhsa_exception_fp_ieee_overflow 0
		.amdhsa_exception_fp_ieee_underflow 0
		.amdhsa_exception_fp_ieee_inexact 0
		.amdhsa_exception_int_div_zero 0
	.end_amdhsa_kernel
	.text
.Lfunc_end0:
	.size	fft_rtc_fwd_len192_factors_6_4_4_2_wgs_256_tpt_32_half_op_CI_CI_sbrc_xy_z_diag, .Lfunc_end0-fft_rtc_fwd_len192_factors_6_4_4_2_wgs_256_tpt_32_half_op_CI_CI_sbrc_xy_z_diag
                                        ; -- End function
	.section	.AMDGPU.csdata,"",@progbits
; Kernel info:
; codeLenInByte = 3568
; NumSgprs: 28
; NumVgprs: 42
; ScratchSize: 0
; MemoryBound: 0
; FloatMode: 240
; IeeeMode: 1
; LDSByteSize: 0 bytes/workgroup (compile time only)
; SGPRBlocks: 3
; VGPRBlocks: 10
; NumSGPRsForWavesPerEU: 28
; NumVGPRsForWavesPerEU: 42
; Occupancy: 5
; WaveLimiterHint : 1
; COMPUTE_PGM_RSRC2:SCRATCH_EN: 0
; COMPUTE_PGM_RSRC2:USER_SGPR: 6
; COMPUTE_PGM_RSRC2:TRAP_HANDLER: 0
; COMPUTE_PGM_RSRC2:TGID_X_EN: 1
; COMPUTE_PGM_RSRC2:TGID_Y_EN: 0
; COMPUTE_PGM_RSRC2:TGID_Z_EN: 0
; COMPUTE_PGM_RSRC2:TIDIG_COMP_CNT: 0
	.type	__hip_cuid_f2b0a2cd299c82c5,@object ; @__hip_cuid_f2b0a2cd299c82c5
	.section	.bss,"aw",@nobits
	.globl	__hip_cuid_f2b0a2cd299c82c5
__hip_cuid_f2b0a2cd299c82c5:
	.byte	0                               ; 0x0
	.size	__hip_cuid_f2b0a2cd299c82c5, 1

	.ident	"AMD clang version 19.0.0git (https://github.com/RadeonOpenCompute/llvm-project roc-6.4.0 25133 c7fe45cf4b819c5991fe208aaa96edf142730f1d)"
	.section	".note.GNU-stack","",@progbits
	.addrsig
	.addrsig_sym __hip_cuid_f2b0a2cd299c82c5
	.amdgpu_metadata
---
amdhsa.kernels:
  - .args:
      - .actual_access:  read_only
        .address_space:  global
        .offset:         0
        .size:           8
        .value_kind:     global_buffer
      - .offset:         8
        .size:           8
        .value_kind:     by_value
      - .actual_access:  read_only
        .address_space:  global
        .offset:         16
        .size:           8
        .value_kind:     global_buffer
      - .actual_access:  read_only
        .address_space:  global
        .offset:         24
        .size:           8
        .value_kind:     global_buffer
      - .actual_access:  read_only
        .address_space:  global
        .offset:         32
        .size:           8
        .value_kind:     global_buffer
      - .offset:         40
        .size:           8
        .value_kind:     by_value
      - .actual_access:  read_only
        .address_space:  global
        .offset:         48
        .size:           8
        .value_kind:     global_buffer
      - .actual_access:  read_only
        .address_space:  global
        .offset:         56
        .size:           8
        .value_kind:     global_buffer
      - .offset:         64
        .size:           4
        .value_kind:     by_value
      - .actual_access:  read_only
        .address_space:  global
        .offset:         72
        .size:           8
        .value_kind:     global_buffer
      - .actual_access:  read_only
        .address_space:  global
        .offset:         80
        .size:           8
        .value_kind:     global_buffer
      - .actual_access:  read_only
        .address_space:  global
        .offset:         88
        .size:           8
        .value_kind:     global_buffer
      - .actual_access:  write_only
        .address_space:  global
        .offset:         96
        .size:           8
        .value_kind:     global_buffer
    .group_segment_fixed_size: 0
    .kernarg_segment_align: 8
    .kernarg_segment_size: 104
    .language:       OpenCL C
    .language_version:
      - 2
      - 0
    .max_flat_workgroup_size: 256
    .name:           fft_rtc_fwd_len192_factors_6_4_4_2_wgs_256_tpt_32_half_op_CI_CI_sbrc_xy_z_diag
    .private_segment_fixed_size: 0
    .sgpr_count:     28
    .sgpr_spill_count: 0
    .symbol:         fft_rtc_fwd_len192_factors_6_4_4_2_wgs_256_tpt_32_half_op_CI_CI_sbrc_xy_z_diag.kd
    .uniform_work_group_size: 1
    .uses_dynamic_stack: false
    .vgpr_count:     42
    .vgpr_spill_count: 0
    .wavefront_size: 64
amdhsa.target:   amdgcn-amd-amdhsa--gfx906
amdhsa.version:
  - 1
  - 2
...

	.end_amdgpu_metadata
